;; amdgpu-corpus repo=ROCm/rocFFT kind=compiled arch=gfx1201 opt=O3
	.text
	.amdgcn_target "amdgcn-amd-amdhsa--gfx1201"
	.amdhsa_code_object_version 6
	.protected	fft_rtc_fwd_len100_factors_5_5_4_wgs_100_tpt_25_dp_op_CI_CI_sbrc_z_xy_aligned_dirReg ; -- Begin function fft_rtc_fwd_len100_factors_5_5_4_wgs_100_tpt_25_dp_op_CI_CI_sbrc_z_xy_aligned_dirReg
	.globl	fft_rtc_fwd_len100_factors_5_5_4_wgs_100_tpt_25_dp_op_CI_CI_sbrc_z_xy_aligned_dirReg
	.p2align	8
	.type	fft_rtc_fwd_len100_factors_5_5_4_wgs_100_tpt_25_dp_op_CI_CI_sbrc_z_xy_aligned_dirReg,@function
fft_rtc_fwd_len100_factors_5_5_4_wgs_100_tpt_25_dp_op_CI_CI_sbrc_z_xy_aligned_dirReg: ; @fft_rtc_fwd_len100_factors_5_5_4_wgs_100_tpt_25_dp_op_CI_CI_sbrc_z_xy_aligned_dirReg
; %bb.0:
	s_load_b256 s[4:11], s[0:1], 0x8
	v_lshrrev_b32_e32 v24, 2, v0
	v_and_b32_e32 v22, 3, v0
	s_delay_alu instid0(VALU_DEP_2) | instskip(NEXT) | instid1(VALU_DEP_2)
	v_lshl_add_u32 v26, v24, 6, 0
	v_lshlrev_b32_e32 v25, 4, v22
	s_delay_alu instid0(VALU_DEP_2) | instskip(SKIP_4) | instid1(SALU_CYCLE_1)
	v_lshl_add_u32 v23, v22, 4, v26
	s_wait_kmcnt 0x0
	s_load_b128 s[12:15], s[6:7], 0x8
	s_wait_kmcnt 0x0
	s_add_co_i32 s2, s12, -1
	s_lshr_b32 s3, s2, 2
	s_delay_alu instid0(SALU_CYCLE_1) | instskip(NEXT) | instid1(SALU_CYCLE_1)
	s_add_co_i32 s6, s3, 1
	s_mul_i32 s7, s6, s14
	s_cvt_f32_u32 s12, s6
	s_cvt_f32_u32 s2, s7
	s_sub_co_i32 s13, 0, s7
	s_delay_alu instid0(SALU_CYCLE_1) | instskip(NEXT) | instid1(SALU_CYCLE_1)
	v_rcp_iflag_f32_e32 v2, s12
	v_rcp_iflag_f32_e32 v1, s2
	s_delay_alu instid0(TRANS32_DEP_1) | instskip(SKIP_1) | instid1(VALU_DEP_2)
	v_readfirstlane_b32 s2, v1
	v_mul_u32_u24_e32 v1, 0x290, v0
	s_mul_f32 s2, s2, 0x4f7ffffe
	s_delay_alu instid0(VALU_DEP_1) | instskip(SKIP_1) | instid1(SALU_CYCLE_1)
	v_lshrrev_b32_e32 v17, 16, v1
	s_wait_alu 0xfffe
	s_cvt_u32_f32 s2, s2
	s_delay_alu instid0(VALU_DEP_1) | instskip(SKIP_1) | instid1(SALU_CYCLE_1)
	v_mul_lo_u16 v1, 0x64, v17
	s_wait_alu 0xfffe
	s_mul_i32 s13, s13, s2
	s_wait_alu 0xfffe
	s_mul_hi_u32 s12, s2, s13
	v_readfirstlane_b32 s13, v2
	s_wait_alu 0xfffe
	s_add_co_i32 s2, s2, s12
	v_sub_nc_u16 v1, v0, v1
	s_wait_alu 0xfffe
	s_mul_hi_u32 s2, ttmp9, s2
	v_mov_b32_e32 v2, 0
	s_wait_alu 0xfffe
	s_mul_i32 s12, s2, s7
	s_add_co_i32 s14, s2, 1
	s_wait_alu 0xfffe
	s_sub_co_i32 s12, ttmp9, s12
	s_mul_f32 s13, s13, 0x4f7ffffe
	s_wait_alu 0xfffe
	s_sub_co_i32 s15, s12, s7
	s_cmp_ge_u32 s12, s7
	v_and_b32_e32 v21, 0xffff, v1
	s_cselect_b32 s2, s14, s2
	s_cselect_b32 s12, s15, s12
	s_wait_alu 0xfffe
	s_add_co_i32 s14, s2, 1
	s_cmp_ge_u32 s12, s7
	s_cvt_u32_f32 s12, s13
	s_cselect_b32 s2, s14, s2
	s_not_b32 s3, s3
	s_wait_alu 0xfffe
	s_mul_i32 s7, s2, s7
	s_mul_i32 s3, s3, s12
	s_sub_co_i32 s7, ttmp9, s7
	s_wait_alu 0xfffe
	s_mul_hi_u32 s3, s12, s3
	v_lshlrev_b32_e32 v18, 6, v21
	s_wait_alu 0xfffe
	s_add_co_i32 s3, s12, s3
	s_load_b128 s[12:15], s[8:9], 0x0
	s_wait_kmcnt 0x0
	s_mul_hi_u32 s15, s7, s3
	s_mul_hi_u32 s3, ttmp9, s3
	s_mul_i32 s16, s15, s6
	s_wait_alu 0xfffe
	s_mul_i32 s3, s3, s6
	s_sub_co_i32 s7, s7, s16
	s_add_co_i32 s16, s15, 1
	s_sub_co_i32 s17, s7, s6
	s_cmp_ge_u32 s7, s6
	s_cselect_b32 s15, s16, s15
	s_cselect_b32 s7, s17, s7
	s_add_co_i32 s16, s15, 1
	s_cmp_ge_u32 s7, s6
	s_cselect_b32 s15, s16, s15
	s_wait_alu 0xfffe
	s_sub_co_i32 s3, ttmp9, s3
	s_wait_alu 0xfffe
	s_sub_co_i32 s7, s3, s6
	s_cmp_ge_u32 s3, s6
	v_mul_lo_u32 v1, s14, v17
	s_cselect_b32 s3, s7, s3
	v_mad_co_u64_u32 v[3:4], null, s12, v21, 0
	s_wait_alu 0xfffe
	s_sub_co_i32 s7, s3, s6
	s_cmp_ge_u32 s3, s6
	s_load_b32 s12, s[8:9], 0x10
	s_cselect_b32 s16, s7, s3
	s_lshl_b64 s[18:19], s[4:5], 3
	v_lshlrev_b64_e32 v[5:6], 4, v[1:2]
	s_add_nc_u64 s[4:5], s[8:9], s[18:19]
	s_load_b64 s[6:7], s[0:1], 0x58
	s_load_b64 s[4:5], s[4:5], 0x0
	s_mov_b32 s9, 0
	s_lshl_b32 s16, s16, 2
	s_mov_b32 s3, s9
	v_mad_co_u64_u32 v[7:8], null, s13, v21, v[4:5]
	v_add_nc_u32_e32 v1, s14, v1
	s_delay_alu instid0(VALU_DEP_2) | instskip(NEXT) | instid1(VALU_DEP_2)
	v_dual_mov_b32 v4, v7 :: v_dual_lshlrev_b32 v17, 4, v17
	v_lshlrev_b64_e32 v[8:9], 4, v[1:2]
	v_add_nc_u32_e32 v1, s14, v1
	s_wait_kmcnt 0x0
	s_mul_i32 s8, s15, s12
	s_mul_i32 s12, s16, s14
	v_lshlrev_b64_e32 v[3:4], 4, v[3:4]
	s_wait_alu 0xfffe
	s_add_co_i32 s8, s12, s8
	v_lshlrev_b64_e32 v[10:11], 4, v[1:2]
	s_mul_u64 s[4:5], s[4:5], s[2:3]
	s_lshl_b64 s[8:9], s[8:9], 4
	s_lshl_b64 s[4:5], s[4:5], 4
	v_add_nc_u32_e32 v1, s14, v1
	s_add_nc_u64 s[4:5], s[6:7], s[4:5]
	v_add3_u32 v17, 0, v18, v17
	s_add_nc_u64 s[4:5], s[4:5], s[8:9]
	s_add_nc_u64 s[12:13], s[10:11], s[18:19]
	v_add_co_u32 v7, vcc_lo, s4, v3
	v_add_co_ci_u32_e32 v12, vcc_lo, s5, v4, vcc_lo
	v_lshlrev_b64_e32 v[1:2], 4, v[1:2]
	s_delay_alu instid0(VALU_DEP_3) | instskip(SKIP_1) | instid1(VALU_DEP_3)
	v_add_co_u32 v3, vcc_lo, v7, v5
	s_wait_alu 0xfffd
	v_add_co_ci_u32_e32 v4, vcc_lo, v12, v6, vcc_lo
	v_add_co_u32 v5, vcc_lo, v7, v8
	s_wait_alu 0xfffd
	v_add_co_ci_u32_e32 v6, vcc_lo, v12, v9, vcc_lo
	v_add_co_u32 v9, vcc_lo, v7, v10
	s_wait_alu 0xfffd
	v_add_co_ci_u32_e32 v10, vcc_lo, v12, v11, vcc_lo
	v_add_co_u32 v13, vcc_lo, v7, v1
	s_wait_alu 0xfffd
	v_add_co_ci_u32_e32 v14, vcc_lo, v12, v2, vcc_lo
	s_clause 0x3
	global_load_b128 v[1:4], v[3:4], off
	global_load_b128 v[5:8], v[5:6], off
	global_load_b128 v[9:12], v[9:10], off
	global_load_b128 v[13:16], v[13:14], off
	s_clause 0x2
	s_load_b128 s[4:7], s[10:11], 0x0
	s_load_b64 s[8:9], s[10:11], 0x10
	s_load_b64 s[10:11], s[12:13], 0x0
	s_mov_b32 s12, 0x134454ff
	s_mov_b32 s13, 0x3fee6f0e
	;; [unrolled: 1-line block ×3, first 2 shown]
	s_wait_alu 0xfffe
	s_mov_b32 s18, s12
	v_cmp_gt_u32_e32 vcc_lo, 0x50, v0
	s_wait_loadcnt 0x3
	ds_store_b128 v17, v[1:4]
	s_wait_loadcnt 0x2
	ds_store_b128 v17, v[5:8] offset:16
	s_wait_loadcnt 0x1
	ds_store_b128 v17, v[9:12] offset:32
	;; [unrolled: 2-line block ×3, first 2 shown]
	global_wb scope:SCOPE_SE
	s_wait_dscnt 0x0
	s_wait_kmcnt 0x0
	s_barrier_signal -1
	s_barrier_wait -1
	global_inv scope:SCOPE_SE
	ds_load_b128 v[1:4], v23 offset:2560
	ds_load_b128 v[5:8], v23 offset:3840
	;; [unrolled: 1-line block ×4, first 2 shown]
	ds_load_b128 v[17:20], v23
	global_wb scope:SCOPE_SE
	s_wait_dscnt 0x0
	s_barrier_signal -1
	s_barrier_wait -1
	global_inv scope:SCOPE_SE
	v_add_f64_e32 v[27:28], v[1:2], v[5:6]
	v_add_f64_e32 v[31:32], v[3:4], v[7:8]
	;; [unrolled: 1-line block ×5, first 2 shown]
	v_add_f64_e64 v[37:38], v[11:12], -v[15:16]
	v_add_f64_e32 v[39:40], v[19:20], v[11:12]
	v_add_f64_e64 v[41:42], v[3:4], -v[7:8]
	v_add_f64_e64 v[43:44], v[1:2], -v[5:6]
	v_add_f64_e64 v[45:46], v[13:14], -v[5:6]
	v_add_f64_e64 v[47:48], v[5:6], -v[13:14]
	v_add_f64_e64 v[49:50], v[11:12], -v[3:4]
	v_add_f64_e64 v[51:52], v[15:16], -v[7:8]
	v_add_f64_e64 v[11:12], v[3:4], -v[11:12]
	v_add_f64_e64 v[53:54], v[7:8], -v[15:16]
	v_fma_f64 v[27:28], v[27:28], -0.5, v[17:18]
	v_fma_f64 v[31:32], v[31:32], -0.5, v[19:20]
	;; [unrolled: 1-line block ×3, first 2 shown]
	v_add_f64_e64 v[29:30], v[9:10], -v[13:14]
	v_fma_f64 v[19:20], v[33:34], -0.5, v[19:20]
	v_add_f64_e64 v[33:34], v[9:10], -v[1:2]
	v_add_f64_e64 v[9:10], v[1:2], -v[9:10]
	v_add_f64_e32 v[1:2], v[35:36], v[1:2]
	v_add_f64_e32 v[3:4], v[39:40], v[3:4]
	v_fma_f64 v[35:36], v[37:38], s[12:13], v[27:28]
	v_fma_f64 v[27:28], v[37:38], s[18:19], v[27:28]
	;; [unrolled: 1-line block ×8, first 2 shown]
	s_mov_b32 s12, 0x4755a5e
	s_mov_b32 s13, 0x3fe2cf23
	;; [unrolled: 1-line block ×3, first 2 shown]
	s_wait_alu 0xfffe
	s_mov_b32 s18, s12
	v_add_f64_e32 v[33:34], v[33:34], v[45:46]
	v_add_f64_e32 v[45:46], v[9:10], v[47:48]
	;; [unrolled: 1-line block ×6, first 2 shown]
	v_fma_f64 v[5:6], v[41:42], s[12:13], v[35:36]
	s_wait_alu 0xfffe
	v_fma_f64 v[7:8], v[41:42], s[18:19], v[27:28]
	v_fma_f64 v[9:10], v[37:38], s[12:13], v[39:40]
	;; [unrolled: 1-line block ×7, first 2 shown]
	s_mov_b32 s12, 0x372fe950
	s_mov_b32 s13, 0x3fd3c6ef
	v_add_f64_e32 v[1:2], v[1:2], v[13:14]
	v_add_f64_e32 v[3:4], v[3:4], v[15:16]
	s_wait_alu 0xfffe
	v_fma_f64 v[5:6], v[33:34], s[12:13], v[5:6]
	v_fma_f64 v[17:18], v[33:34], s[12:13], v[7:8]
	v_fma_f64 v[9:10], v[45:46], s[12:13], v[9:10]
	v_fma_f64 v[13:14], v[45:46], s[12:13], v[11:12]
	v_fma_f64 v[7:8], v[47:48], s[12:13], v[27:28]
	v_fma_f64 v[19:20], v[47:48], s[12:13], v[31:32]
	v_fma_f64 v[11:12], v[49:50], s[12:13], v[35:36]
	v_fma_f64 v[15:16], v[49:50], s[12:13], v[29:30]
	s_and_saveexec_b32 s7, vcc_lo
	s_cbranch_execz .LBB0_2
; %bb.1:
	v_lshlrev_b32_e32 v27, 8, v24
	s_delay_alu instid0(VALU_DEP_1)
	v_add3_u32 v26, v26, v27, v25
	ds_store_b128 v26, v[1:4]
	ds_store_b128 v26, v[5:8] offset:64
	ds_store_b128 v26, v[9:12] offset:128
	;; [unrolled: 1-line block ×4, first 2 shown]
.LBB0_2:
	s_or_b32 exec_lo, exec_lo, s7
	s_load_b64 s[12:13], s[0:1], 0x0
	global_wb scope:SCOPE_SE
	s_wait_dscnt 0x0
	s_wait_kmcnt 0x0
	s_barrier_signal -1
	s_barrier_wait -1
	global_inv scope:SCOPE_SE
	s_and_saveexec_b32 s7, vcc_lo
	s_cbranch_execz .LBB0_4
; %bb.3:
	ds_load_b128 v[1:4], v23
	ds_load_b128 v[5:8], v23 offset:1280
	ds_load_b128 v[9:12], v23 offset:2560
	;; [unrolled: 1-line block ×4, first 2 shown]
.LBB0_4:
	s_or_b32 exec_lo, exec_lo, s7
	s_load_b64 s[0:1], s[0:1], 0x60
	global_wb scope:SCOPE_SE
	s_wait_dscnt 0x0
	s_wait_kmcnt 0x0
	s_barrier_signal -1
	s_barrier_wait -1
	global_inv scope:SCOPE_SE
	s_and_saveexec_b32 s7, vcc_lo
	s_cbranch_execz .LBB0_6
; %bb.5:
	v_mul_lo_u16 v26, v24, 52
	s_mov_b32 s18, 0x134454ff
	s_mov_b32 s19, 0xbfee6f0e
	;; [unrolled: 1-line block ×3, first 2 shown]
	s_wait_alu 0xfffe
	s_mov_b32 s20, s18
	v_lshrrev_b16 v58, 8, v26
	s_delay_alu instid0(VALU_DEP_1) | instskip(NEXT) | instid1(VALU_DEP_1)
	v_mul_lo_u16 v26, v58, 5
	v_sub_nc_u16 v59, v24, v26
	s_delay_alu instid0(VALU_DEP_1) | instskip(NEXT) | instid1(VALU_DEP_1)
	v_lshlrev_b16 v26, 2, v59
	v_and_b32_e32 v26, 0xfc, v26
	s_delay_alu instid0(VALU_DEP_1)
	v_lshlrev_b32_e32 v38, 4, v26
	s_clause 0x3
	global_load_b128 v[26:29], v38, s[12:13] offset:16
	global_load_b128 v[30:33], v38, s[12:13]
	global_load_b128 v[34:37], v38, s[12:13] offset:48
	global_load_b128 v[38:41], v38, s[12:13] offset:32
	s_wait_loadcnt 0x3
	v_mul_f64_e32 v[42:43], v[9:10], v[28:29]
	s_wait_loadcnt 0x2
	v_mul_f64_e32 v[44:45], v[5:6], v[32:33]
	;; [unrolled: 2-line block ×4, first 2 shown]
	v_mul_f64_e32 v[28:29], v[11:12], v[28:29]
	v_mul_f64_e32 v[40:41], v[15:16], v[40:41]
	v_mul_f64_e32 v[32:33], v[7:8], v[32:33]
	v_mul_f64_e32 v[36:37], v[19:20], v[36:37]
	v_fma_f64 v[11:12], v[11:12], v[26:27], v[42:43]
	v_fma_f64 v[7:8], v[7:8], v[30:31], v[44:45]
	;; [unrolled: 1-line block ×4, first 2 shown]
	v_fma_f64 v[9:10], v[9:10], v[26:27], -v[28:29]
	v_fma_f64 v[13:14], v[13:14], v[38:39], -v[40:41]
	;; [unrolled: 1-line block ×4, first 2 shown]
	v_add_f64_e32 v[38:39], v[3:4], v[7:8]
	v_add_f64_e32 v[26:27], v[7:8], v[19:20]
	;; [unrolled: 1-line block ×3, first 2 shown]
	v_add_f64_e64 v[42:43], v[11:12], -v[15:16]
	v_add_f64_e32 v[30:31], v[9:10], v[13:14]
	v_add_f64_e32 v[40:41], v[1:2], v[5:6]
	;; [unrolled: 1-line block ×3, first 2 shown]
	v_add_f64_e64 v[34:35], v[5:6], -v[17:18]
	v_add_f64_e64 v[36:37], v[9:10], -v[13:14]
	;; [unrolled: 1-line block ×8, first 2 shown]
	v_fma_f64 v[26:27], v[26:27], -0.5, v[3:4]
	v_fma_f64 v[3:4], v[28:29], -0.5, v[3:4]
	v_add_f64_e64 v[28:29], v[7:8], -v[19:20]
	v_fma_f64 v[30:31], v[30:31], -0.5, v[1:2]
	v_add_f64_e32 v[9:10], v[40:41], v[9:10]
	v_fma_f64 v[1:2], v[32:33], -0.5, v[1:2]
	v_add_f64_e64 v[32:33], v[11:12], -v[7:8]
	v_add_f64_e64 v[7:8], v[7:8], -v[11:12]
	v_add_f64_e32 v[11:12], v[38:39], v[11:12]
	v_fma_f64 v[38:39], v[36:37], s[18:19], v[26:27]
	v_fma_f64 v[26:27], v[36:37], s[20:21], v[26:27]
	;; [unrolled: 1-line block ×8, first 2 shown]
	s_mov_b32 s18, 0x4755a5e
	s_mov_b32 s19, 0x3fe2cf23
	;; [unrolled: 1-line block ×3, first 2 shown]
	s_wait_alu 0xfffe
	s_mov_b32 s20, s18
	v_add_f64_e32 v[32:33], v[32:33], v[44:45]
	v_add_f64_e32 v[44:45], v[7:8], v[46:47]
	;; [unrolled: 1-line block ×6, first 2 shown]
	v_fma_f64 v[9:10], v[34:35], s[18:19], v[38:39]
	s_wait_alu 0xfffe
	v_fma_f64 v[11:12], v[34:35], s[20:21], v[26:27]
	v_fma_f64 v[13:14], v[36:37], s[18:19], v[40:41]
	;; [unrolled: 1-line block ×7, first 2 shown]
	s_mov_b32 s18, 0x372fe950
	s_mov_b32 s19, 0x3fd3c6ef
	v_add_f64_e32 v[3:4], v[5:6], v[19:20]
	v_add_f64_e32 v[1:2], v[7:8], v[17:18]
	s_wait_alu 0xfffe
	v_fma_f64 v[7:8], v[32:33], s[18:19], v[9:10]
	v_fma_f64 v[11:12], v[32:33], s[18:19], v[11:12]
	;; [unrolled: 1-line block ×8, first 2 shown]
	v_mad_u16 v26, v58, 25, v59
	s_delay_alu instid0(VALU_DEP_1) | instskip(NEXT) | instid1(VALU_DEP_1)
	v_and_b32_e32 v26, 0xff, v26
	v_lshlrev_b32_e32 v26, 6, v26
	s_delay_alu instid0(VALU_DEP_1)
	v_add3_u32 v25, 0, v26, v25
	ds_store_b128 v25, v[1:4]
	ds_store_b128 v25, v[17:20] offset:320
	ds_store_b128 v25, v[9:12] offset:640
	;; [unrolled: 1-line block ×4, first 2 shown]
.LBB0_6:
	s_or_b32 exec_lo, exec_lo, s7
	v_mul_lo_u16 v1, v24, 21
	global_wb scope:SCOPE_SE
	s_wait_dscnt 0x0
	s_barrier_signal -1
	s_barrier_wait -1
	global_inv scope:SCOPE_SE
	v_lshrrev_b16 v1, 9, v1
	v_sub_nc_u32_e32 v0, v0, v21
	s_mul_u64 s[2:3], s[10:11], s[2:3]
	s_wait_alu 0xfffe
	s_lshl_b64 s[2:3], s[2:3], 4
	v_mul_lo_u16 v1, v1, 25
	s_wait_alu 0xfffe
	s_add_nc_u64 s[0:1], s[0:1], s[2:3]
	s_mul_i32 s2, s8, 25
	s_delay_alu instid0(VALU_DEP_1) | instskip(NEXT) | instid1(VALU_DEP_1)
	v_sub_nc_u16 v1, v24, v1
	v_and_b32_e32 v34, 0xff, v1
	s_delay_alu instid0(VALU_DEP_1) | instskip(NEXT) | instid1(VALU_DEP_1)
	v_mul_u32_u24_e32 v1, 3, v34
	v_lshlrev_b32_e32 v9, 4, v1
	s_clause 0x2
	global_load_b128 v[1:4], v9, s[12:13] offset:320
	global_load_b128 v[5:8], v9, s[12:13] offset:336
	;; [unrolled: 1-line block ×3, first 2 shown]
	ds_load_b128 v[13:16], v23 offset:1600
	ds_load_b128 v[17:20], v23 offset:3200
	;; [unrolled: 1-line block ×3, first 2 shown]
	s_wait_loadcnt_dscnt 0x202
	v_mul_f64_e32 v[28:29], v[15:16], v[3:4]
	v_mul_f64_e32 v[3:4], v[13:14], v[3:4]
	s_wait_loadcnt_dscnt 0x101
	v_mul_f64_e32 v[30:31], v[19:20], v[7:8]
	v_mul_f64_e32 v[7:8], v[17:18], v[7:8]
	;; [unrolled: 3-line block ×3, first 2 shown]
	v_fma_f64 v[13:14], v[13:14], v[1:2], -v[28:29]
	v_fma_f64 v[15:16], v[15:16], v[1:2], v[3:4]
	v_fma_f64 v[17:18], v[17:18], v[5:6], -v[30:31]
	v_fma_f64 v[5:6], v[19:20], v[5:6], v[7:8]
	v_fma_f64 v[7:8], v[24:25], v[9:10], -v[32:33]
	v_fma_f64 v[9:10], v[26:27], v[9:10], v[11:12]
	ds_load_b128 v[1:4], v23
	s_wait_dscnt 0x0
	v_add_f64_e64 v[11:12], v[1:2], -v[17:18]
	v_add_f64_e64 v[17:18], v[3:4], -v[5:6]
	;; [unrolled: 1-line block ×4, first 2 shown]
	v_or_b32_e32 v10, s16, v22
	v_fma_f64 v[23:24], v[1:2], 2.0, -v[11:12]
	v_fma_f64 v[25:26], v[3:4], 2.0, -v[17:18]
	;; [unrolled: 1-line block ×4, first 2 shown]
	v_add_f64_e64 v[1:2], v[11:12], -v[5:6]
	s_delay_alu instid0(VALU_DEP_3) | instskip(NEXT) | instid1(VALU_DEP_3)
	v_add_f64_e64 v[5:6], v[23:24], -v[3:4]
	v_add_f64_e64 v[7:8], v[25:26], -v[7:8]
	v_add_f64_e32 v[3:4], v[17:18], v[19:20]
	v_mad_co_u64_u32 v[19:20], null, s4, v10, 0
	s_mul_i32 s4, s15, s6
	s_delay_alu instid0(VALU_DEP_1) | instskip(SKIP_1) | instid1(VALU_DEP_2)
	v_mov_b32_e32 v9, v20
	v_add_nc_u32_e32 v0, v0, v34
	v_mad_co_u64_u32 v[9:10], null, s5, v10, v[9:10]
	s_mov_b32 s5, 0
	s_wait_alu 0xfffe
	s_lshl_b64 s[4:5], s[4:5], 4
	s_wait_alu 0xfffe
	s_add_nc_u64 s[0:1], s[0:1], s[4:5]
	s_delay_alu instid0(VALU_DEP_1)
	v_mov_b32_e32 v20, v9
	v_fma_f64 v[9:10], v[11:12], 2.0, -v[1:2]
	v_fma_f64 v[13:14], v[23:24], 2.0, -v[5:6]
	;; [unrolled: 1-line block ×4, first 2 shown]
	v_mul_lo_u32 v17, v0, s8
	v_mov_b32_e32 v18, 0
	s_delay_alu instid0(VALU_DEP_1) | instskip(SKIP_2) | instid1(VALU_DEP_1)
	v_lshlrev_b64_e32 v[21:22], 4, v[17:18]
	v_add_nc_u32_e32 v17, s2, v17
	v_lshlrev_b64_e32 v[19:20], 4, v[19:20]
	v_add_co_u32 v0, vcc_lo, s0, v19
	s_wait_alu 0xfffd
	s_delay_alu instid0(VALU_DEP_2)
	v_add_co_ci_u32_e32 v25, vcc_lo, s1, v20, vcc_lo
	v_lshlrev_b64_e32 v[19:20], 4, v[17:18]
	v_add_nc_u32_e32 v17, s2, v17
	v_add_co_u32 v21, vcc_lo, v0, v21
	s_wait_alu 0xfffd
	v_add_co_ci_u32_e32 v22, vcc_lo, v25, v22, vcc_lo
	s_delay_alu instid0(VALU_DEP_3) | instskip(SKIP_4) | instid1(VALU_DEP_3)
	v_lshlrev_b64_e32 v[23:24], 4, v[17:18]
	v_add_nc_u32_e32 v17, s2, v17
	v_add_co_u32 v19, vcc_lo, v0, v19
	s_wait_alu 0xfffd
	v_add_co_ci_u32_e32 v20, vcc_lo, v25, v20, vcc_lo
	v_lshlrev_b64_e32 v[17:18], 4, v[17:18]
	v_add_co_u32 v23, vcc_lo, v0, v23
	s_wait_alu 0xfffd
	v_add_co_ci_u32_e32 v24, vcc_lo, v25, v24, vcc_lo
	s_delay_alu instid0(VALU_DEP_3)
	v_add_co_u32 v17, vcc_lo, v0, v17
	s_wait_alu 0xfffd
	v_add_co_ci_u32_e32 v18, vcc_lo, v25, v18, vcc_lo
	s_clause 0x3
	global_store_b128 v[21:22], v[13:16], off
	global_store_b128 v[19:20], v[9:12], off
	;; [unrolled: 1-line block ×4, first 2 shown]
	s_nop 0
	s_sendmsg sendmsg(MSG_DEALLOC_VGPRS)
	s_endpgm
	.section	.rodata,"a",@progbits
	.p2align	6, 0x0
	.amdhsa_kernel fft_rtc_fwd_len100_factors_5_5_4_wgs_100_tpt_25_dp_op_CI_CI_sbrc_z_xy_aligned_dirReg
		.amdhsa_group_segment_fixed_size 0
		.amdhsa_private_segment_fixed_size 0
		.amdhsa_kernarg_size 104
		.amdhsa_user_sgpr_count 2
		.amdhsa_user_sgpr_dispatch_ptr 0
		.amdhsa_user_sgpr_queue_ptr 0
		.amdhsa_user_sgpr_kernarg_segment_ptr 1
		.amdhsa_user_sgpr_dispatch_id 0
		.amdhsa_user_sgpr_private_segment_size 0
		.amdhsa_wavefront_size32 1
		.amdhsa_uses_dynamic_stack 0
		.amdhsa_enable_private_segment 0
		.amdhsa_system_sgpr_workgroup_id_x 1
		.amdhsa_system_sgpr_workgroup_id_y 0
		.amdhsa_system_sgpr_workgroup_id_z 0
		.amdhsa_system_sgpr_workgroup_info 0
		.amdhsa_system_vgpr_workitem_id 0
		.amdhsa_next_free_vgpr 60
		.amdhsa_next_free_sgpr 22
		.amdhsa_reserve_vcc 1
		.amdhsa_float_round_mode_32 0
		.amdhsa_float_round_mode_16_64 0
		.amdhsa_float_denorm_mode_32 3
		.amdhsa_float_denorm_mode_16_64 3
		.amdhsa_fp16_overflow 0
		.amdhsa_workgroup_processor_mode 1
		.amdhsa_memory_ordered 1
		.amdhsa_forward_progress 0
		.amdhsa_round_robin_scheduling 0
		.amdhsa_exception_fp_ieee_invalid_op 0
		.amdhsa_exception_fp_denorm_src 0
		.amdhsa_exception_fp_ieee_div_zero 0
		.amdhsa_exception_fp_ieee_overflow 0
		.amdhsa_exception_fp_ieee_underflow 0
		.amdhsa_exception_fp_ieee_inexact 0
		.amdhsa_exception_int_div_zero 0
	.end_amdhsa_kernel
	.text
.Lfunc_end0:
	.size	fft_rtc_fwd_len100_factors_5_5_4_wgs_100_tpt_25_dp_op_CI_CI_sbrc_z_xy_aligned_dirReg, .Lfunc_end0-fft_rtc_fwd_len100_factors_5_5_4_wgs_100_tpt_25_dp_op_CI_CI_sbrc_z_xy_aligned_dirReg
                                        ; -- End function
	.section	.AMDGPU.csdata,"",@progbits
; Kernel info:
; codeLenInByte = 3080
; NumSgprs: 24
; NumVgprs: 60
; ScratchSize: 0
; MemoryBound: 0
; FloatMode: 240
; IeeeMode: 1
; LDSByteSize: 0 bytes/workgroup (compile time only)
; SGPRBlocks: 2
; VGPRBlocks: 7
; NumSGPRsForWavesPerEU: 24
; NumVGPRsForWavesPerEU: 60
; Occupancy: 16
; WaveLimiterHint : 1
; COMPUTE_PGM_RSRC2:SCRATCH_EN: 0
; COMPUTE_PGM_RSRC2:USER_SGPR: 2
; COMPUTE_PGM_RSRC2:TRAP_HANDLER: 0
; COMPUTE_PGM_RSRC2:TGID_X_EN: 1
; COMPUTE_PGM_RSRC2:TGID_Y_EN: 0
; COMPUTE_PGM_RSRC2:TGID_Z_EN: 0
; COMPUTE_PGM_RSRC2:TIDIG_COMP_CNT: 0
	.text
	.p2alignl 7, 3214868480
	.fill 96, 4, 3214868480
	.type	__hip_cuid_d5b31dff4e2d8c75,@object ; @__hip_cuid_d5b31dff4e2d8c75
	.section	.bss,"aw",@nobits
	.globl	__hip_cuid_d5b31dff4e2d8c75
__hip_cuid_d5b31dff4e2d8c75:
	.byte	0                               ; 0x0
	.size	__hip_cuid_d5b31dff4e2d8c75, 1

	.ident	"AMD clang version 19.0.0git (https://github.com/RadeonOpenCompute/llvm-project roc-6.4.0 25133 c7fe45cf4b819c5991fe208aaa96edf142730f1d)"
	.section	".note.GNU-stack","",@progbits
	.addrsig
	.addrsig_sym __hip_cuid_d5b31dff4e2d8c75
	.amdgpu_metadata
---
amdhsa.kernels:
  - .args:
      - .actual_access:  read_only
        .address_space:  global
        .offset:         0
        .size:           8
        .value_kind:     global_buffer
      - .offset:         8
        .size:           8
        .value_kind:     by_value
      - .actual_access:  read_only
        .address_space:  global
        .offset:         16
        .size:           8
        .value_kind:     global_buffer
      - .actual_access:  read_only
        .address_space:  global
        .offset:         24
        .size:           8
        .value_kind:     global_buffer
      - .actual_access:  read_only
        .address_space:  global
        .offset:         32
        .size:           8
        .value_kind:     global_buffer
      - .offset:         40
        .size:           8
        .value_kind:     by_value
      - .actual_access:  read_only
        .address_space:  global
        .offset:         48
        .size:           8
        .value_kind:     global_buffer
      - .actual_access:  read_only
        .address_space:  global
        .offset:         56
        .size:           8
        .value_kind:     global_buffer
      - .offset:         64
        .size:           4
        .value_kind:     by_value
      - .actual_access:  read_only
        .address_space:  global
        .offset:         72
        .size:           8
        .value_kind:     global_buffer
      - .actual_access:  read_only
        .address_space:  global
        .offset:         80
        .size:           8
        .value_kind:     global_buffer
      - .actual_access:  read_only
        .address_space:  global
        .offset:         88
        .size:           8
        .value_kind:     global_buffer
      - .actual_access:  write_only
        .address_space:  global
        .offset:         96
        .size:           8
        .value_kind:     global_buffer
    .group_segment_fixed_size: 0
    .kernarg_segment_align: 8
    .kernarg_segment_size: 104
    .language:       OpenCL C
    .language_version:
      - 2
      - 0
    .max_flat_workgroup_size: 100
    .name:           fft_rtc_fwd_len100_factors_5_5_4_wgs_100_tpt_25_dp_op_CI_CI_sbrc_z_xy_aligned_dirReg
    .private_segment_fixed_size: 0
    .sgpr_count:     24
    .sgpr_spill_count: 0
    .symbol:         fft_rtc_fwd_len100_factors_5_5_4_wgs_100_tpt_25_dp_op_CI_CI_sbrc_z_xy_aligned_dirReg.kd
    .uniform_work_group_size: 1
    .uses_dynamic_stack: false
    .vgpr_count:     60
    .vgpr_spill_count: 0
    .wavefront_size: 32
    .workgroup_processor_mode: 1
amdhsa.target:   amdgcn-amd-amdhsa--gfx1201
amdhsa.version:
  - 1
  - 2
...

	.end_amdgpu_metadata
